;; amdgpu-corpus repo=ROCm/rocFFT kind=compiled arch=gfx906 opt=O3
	.text
	.amdgcn_target "amdgcn-amd-amdhsa--gfx906"
	.amdhsa_code_object_version 6
	.protected	fft_rtc_fwd_len192_factors_2_2_3_4_4_wgs_256_tpt_16_halfLds_dim3_sp_ip_CI_sbrr_dirReg ; -- Begin function fft_rtc_fwd_len192_factors_2_2_3_4_4_wgs_256_tpt_16_halfLds_dim3_sp_ip_CI_sbrr_dirReg
	.globl	fft_rtc_fwd_len192_factors_2_2_3_4_4_wgs_256_tpt_16_halfLds_dim3_sp_ip_CI_sbrr_dirReg
	.p2align	8
	.type	fft_rtc_fwd_len192_factors_2_2_3_4_4_wgs_256_tpt_16_halfLds_dim3_sp_ip_CI_sbrr_dirReg,@function
fft_rtc_fwd_len192_factors_2_2_3_4_4_wgs_256_tpt_16_halfLds_dim3_sp_ip_CI_sbrr_dirReg: ; @fft_rtc_fwd_len192_factors_2_2_3_4_4_wgs_256_tpt_16_halfLds_dim3_sp_ip_CI_sbrr_dirReg
; %bb.0:
	s_load_dwordx4 s[0:3], s[4:5], 0x8
	v_lshrrev_b32_e32 v35, 4, v0
	v_mov_b32_e32 v1, 0
	v_lshl_or_b32 v3, s6, 4, v35
	v_mov_b32_e32 v4, 0
	s_waitcnt lgkmcnt(0)
	s_load_dwordx2 s[8:9], s[0:1], 0x8
	v_mov_b32_e32 v2, 0
	v_mov_b32_e32 v6, v2
	v_mov_b32_e32 v5, v1
	s_waitcnt lgkmcnt(0)
	v_cmp_le_u64_e32 vcc, s[8:9], v[3:4]
	s_and_saveexec_b64 s[6:7], vcc
	s_cbranch_execz .LBB0_2
; %bb.1:
	v_cvt_f32_u32_e32 v5, s8
	s_sub_i32 s10, 0, s8
	v_rcp_iflag_f32_e32 v5, v5
	v_mul_f32_e32 v5, 0x4f7ffffe, v5
	v_cvt_u32_f32_e32 v5, v5
	v_mul_lo_u32 v6, s10, v5
	v_mul_hi_u32 v6, v5, v6
	v_add_u32_e32 v5, v5, v6
	v_mul_hi_u32 v5, v3, v5
	v_mul_lo_u32 v6, v5, s8
	v_add_u32_e32 v7, 1, v5
	v_sub_u32_e32 v6, v3, v6
	v_subrev_u32_e32 v8, s8, v6
	v_cmp_le_u32_e32 vcc, s8, v6
	v_cndmask_b32_e32 v6, v6, v8, vcc
	v_cndmask_b32_e32 v5, v5, v7, vcc
	v_add_u32_e32 v7, 1, v5
	v_cmp_le_u32_e32 vcc, s8, v6
	v_cndmask_b32_e32 v5, v5, v7, vcc
	v_mov_b32_e32 v6, v4
.LBB0_2:
	s_or_b64 exec, exec, s[6:7]
	s_load_dwordx2 s[6:7], s[0:1], 0x10
	s_load_dwordx2 s[10:11], s[2:3], 0x8
	s_waitcnt lgkmcnt(0)
	v_cmp_le_u64_e32 vcc, s[6:7], v[5:6]
	s_and_saveexec_b64 s[0:1], vcc
	s_cbranch_execz .LBB0_4
; %bb.3:
	v_cvt_f32_u32_e32 v1, s6
	s_sub_i32 s12, 0, s6
	v_rcp_iflag_f32_e32 v1, v1
	v_mul_f32_e32 v1, 0x4f7ffffe, v1
	v_cvt_u32_f32_e32 v1, v1
	v_mul_lo_u32 v2, s12, v1
	v_mul_hi_u32 v2, v1, v2
	v_add_u32_e32 v1, v1, v2
	v_mul_hi_u32 v1, v5, v1
	v_mul_lo_u32 v2, v1, s6
	v_add_u32_e32 v4, 1, v1
	v_sub_u32_e32 v2, v5, v2
	v_subrev_u32_e32 v7, s6, v2
	v_cmp_le_u32_e32 vcc, s6, v2
	v_cndmask_b32_e32 v2, v2, v7, vcc
	v_cndmask_b32_e32 v1, v1, v4, vcc
	v_add_u32_e32 v4, 1, v1
	v_cmp_le_u32_e32 vcc, s6, v2
	v_cndmask_b32_e32 v1, v1, v4, vcc
	v_mov_b32_e32 v2, 0
.LBB0_4:
	s_or_b64 exec, exec, s[0:1]
	v_mad_u64_u32 v[7:8], s[0:1], v5, s8, 0
	s_load_dwordx4 s[12:15], s[2:3], 0x10
	v_and_b32_e32 v27, 15, v0
	v_mov_b32_e32 v4, v8
	v_mad_u64_u32 v[8:9], s[0:1], v5, s9, v[4:5]
	v_sub_co_u32_e32 v7, vcc, v3, v7
	v_mov_b32_e32 v4, v8
	v_subb_co_u32_e32 v8, vcc, 0, v4, vcc
	v_mad_u64_u32 v[3:4], s[0:1], v1, s6, 0
	v_mul_lo_u32 v11, s11, v7
	v_mul_lo_u32 v12, s10, v8
	v_mad_u64_u32 v[9:10], s[0:1], v1, s7, v[4:5]
	v_mad_u64_u32 v[7:8], s[0:1], s10, v7, 0
	v_mov_b32_e32 v4, v9
	v_sub_co_u32_e32 v5, vcc, v5, v3
	v_add3_u32 v8, v8, v12, v11
	v_subb_co_u32_e32 v6, vcc, v6, v4, vcc
	s_waitcnt lgkmcnt(0)
	v_mad_u64_u32 v[3:4], s[0:1], s12, v5, v[7:8]
	v_mul_lo_u32 v6, s12, v6
	v_mul_lo_u32 v5, s13, v5
	s_load_dwordx2 s[10:11], s[4:5], 0x0
	v_or_b32_e32 v30, 16, v27
	v_or_b32_e32 v28, 32, v27
	v_add3_u32 v4, v5, v4, v6
	v_mad_u64_u32 v[3:4], s[0:1], s14, v1, v[3:4]
	s_load_dwordx2 s[8:9], s[4:5], 0x48
	s_load_dwordx2 s[0:1], s[4:5], 0x18
	s_load_dwordx2 s[6:7], s[2:3], 0x0
	v_or_b32_e32 v31, 48, v27
	v_mad_u64_u32 v[4:5], s[2:3], s15, v1, v[4:5]
	s_waitcnt lgkmcnt(0)
	v_cmp_gt_u64_e32 vcc, s[0:1], v[1:2]
	v_cmp_le_u64_e64 s[0:1], s[0:1], v[1:2]
	v_or_b32_e32 v29, 64, v27
                                        ; implicit-def: $sgpr4_sgpr5
                                        ; implicit-def: $vgpr32
                                        ; implicit-def: $vgpr33
                                        ; implicit-def: $vgpr34
                                        ; implicit-def: $vgpr37
                                        ; implicit-def: $vgpr36
	s_and_saveexec_b64 s[2:3], s[0:1]
	s_xor_b64 s[0:1], exec, s[2:3]
; %bb.5:
	v_or_b32_e32 v32, 16, v27
	v_or_b32_e32 v33, 32, v27
	v_or_b32_e32 v34, 48, v27
	v_or_b32_e32 v37, 64, v27
	v_or_b32_e32 v36, 0x50, v27
	s_mov_b64 s[4:5], 0
; %bb.6:
	s_or_saveexec_b64 s[2:3], s[0:1]
	v_mov_b32_e32 v24, s5
	v_lshlrev_b64 v[1:2], 3, v[3:4]
	v_mov_b32_e32 v16, s5
	v_mov_b32_e32 v12, s5
	;; [unrolled: 1-line block ×11, first 2 shown]
                                        ; implicit-def: $vgpr26
                                        ; implicit-def: $vgpr6
                                        ; implicit-def: $vgpr4
                                        ; implicit-def: $vgpr10
                                        ; implicit-def: $vgpr8
                                        ; implicit-def: $vgpr14
	s_xor_b64 exec, exec, s[2:3]
	s_cbranch_execz .LBB0_8
; %bb.7:
	v_mad_u64_u32 v[3:4], s[0:1], s6, v27, 0
	v_or_b32_e32 v8, 0x60, v27
	v_mov_b32_e32 v7, s9
	v_mad_u64_u32 v[4:5], s[0:1], s7, v27, v[4:5]
	v_mad_u64_u32 v[5:6], s[0:1], s6, v8, 0
	v_add_co_u32_e64 v11, s[0:1], s8, v1
	v_addc_co_u32_e64 v12, s[0:1], v7, v2, s[0:1]
	v_mad_u64_u32 v[6:7], s[0:1], s7, v8, v[6:7]
	v_mad_u64_u32 v[7:8], s[0:1], s6, v30, 0
	v_lshlrev_b64 v[3:4], 3, v[3:4]
	v_or_b32_e32 v36, 0x50, v27
	v_add_co_u32_e64 v32, s[0:1], v11, v3
	v_addc_co_u32_e64 v33, s[0:1], v12, v4, s[0:1]
	v_lshlrev_b64 v[3:4], 3, v[5:6]
	v_mov_b32_e32 v5, v8
	v_mad_u64_u32 v[5:6], s[0:1], s7, v30, v[5:6]
	v_or_b32_e32 v6, 0x70, v27
	v_mad_u64_u32 v[9:10], s[0:1], s6, v6, 0
	v_add_co_u32_e64 v37, s[0:1], v11, v3
	v_mov_b32_e32 v8, v5
	v_mov_b32_e32 v5, v10
	v_addc_co_u32_e64 v38, s[0:1], v12, v4, s[0:1]
	v_mad_u64_u32 v[5:6], s[0:1], s7, v6, v[5:6]
	v_lshlrev_b64 v[3:4], 3, v[7:8]
	v_mad_u64_u32 v[6:7], s[0:1], s6, v28, 0
	v_add_co_u32_e64 v39, s[0:1], v11, v3
	v_mov_b32_e32 v10, v5
	v_mov_b32_e32 v5, v7
	v_addc_co_u32_e64 v40, s[0:1], v12, v4, s[0:1]
	v_lshlrev_b64 v[3:4], 3, v[9:10]
	v_mad_u64_u32 v[7:8], s[0:1], s7, v28, v[5:6]
	v_or_b32_e32 v10, 0x80, v27
	v_mad_u64_u32 v[8:9], s[0:1], s6, v10, 0
	v_add_co_u32_e64 v41, s[0:1], v11, v3
	v_mov_b32_e32 v5, v9
	v_addc_co_u32_e64 v42, s[0:1], v12, v4, s[0:1]
	v_lshlrev_b64 v[3:4], 3, v[6:7]
	v_mad_u64_u32 v[5:6], s[0:1], s7, v10, v[5:6]
	v_mad_u64_u32 v[6:7], s[0:1], s6, v31, 0
	v_add_co_u32_e64 v43, s[0:1], v11, v3
	v_mov_b32_e32 v9, v5
	v_mov_b32_e32 v5, v7
	v_addc_co_u32_e64 v44, s[0:1], v12, v4, s[0:1]
	v_lshlrev_b64 v[3:4], 3, v[8:9]
	v_mad_u64_u32 v[7:8], s[0:1], s7, v31, v[5:6]
	v_or_b32_e32 v10, 0x90, v27
	v_mad_u64_u32 v[8:9], s[0:1], s6, v10, 0
	v_add_co_u32_e64 v45, s[0:1], v11, v3
	v_mov_b32_e32 v5, v9
	v_addc_co_u32_e64 v46, s[0:1], v12, v4, s[0:1]
	v_lshlrev_b64 v[3:4], 3, v[6:7]
	v_mad_u64_u32 v[5:6], s[0:1], s7, v10, v[5:6]
	;; [unrolled: 14-line block ×4, first 2 shown]
	v_add_co_u32_e64 v55, s[0:1], v11, v3
	v_mov_b32_e32 v9, v5
	v_addc_co_u32_e64 v56, s[0:1], v12, v4, s[0:1]
	v_lshlrev_b64 v[3:4], 3, v[8:9]
	v_mov_b32_e32 v34, v31
	v_add_co_u32_e64 v57, s[0:1], v11, v3
	v_addc_co_u32_e64 v58, s[0:1], v12, v4, s[0:1]
	global_load_dwordx2 v[23:24], v[32:33], off
	global_load_dwordx2 v[25:26], v[37:38], off
	;; [unrolled: 1-line block ×12, first 2 shown]
	v_mov_b32_e32 v37, v29
	v_mov_b32_e32 v33, v28
	;; [unrolled: 1-line block ×3, first 2 shown]
.LBB0_8:
	s_or_b64 exec, exec, s[2:3]
	v_mul_u32_u24_e32 v35, 0xc0, v35
	s_waitcnt vmcnt(10)
	v_sub_f32_e32 v26, v24, v26
	s_waitcnt vmcnt(8)
	v_sub_f32_e32 v41, v15, v13
	v_lshlrev_b32_e32 v13, 2, v35
	v_sub_f32_e32 v39, v23, v25
	v_fma_f32 v25, v24, 2.0, -v26
	v_add_u32_e32 v24, 0, v13
	v_fma_f32 v38, v23, 2.0, -v39
	v_lshl_add_u32 v35, v27, 3, v24
	ds_write_b64 v35, v[38:39]
	s_waitcnt vmcnt(6)
	v_sub_f32_e32 v39, v11, v5
	v_fma_f32 v40, v15, 2.0, -v41
	v_lshl_add_u32 v44, v32, 3, v24
	v_fma_f32 v38, v11, 2.0, -v39
	v_lshl_add_u32 v45, v33, 3, v24
	ds_write_b64 v44, v[40:41]
	ds_write_b64 v45, v[38:39]
	s_waitcnt vmcnt(4)
	v_sub_f32_e32 v39, v17, v7
	v_fma_f32 v38, v17, 2.0, -v39
	v_lshl_add_u32 v46, v34, 3, v24
	ds_write_b64 v46, v[38:39]
	s_waitcnt vmcnt(2)
	v_sub_f32_e32 v39, v19, v3
	v_lshlrev_b32_e32 v3, 2, v27
	v_add3_u32 v17, 0, v3, v13
	v_add_u32_e32 v11, v24, v3
	v_lshlrev_b32_e32 v3, 2, v32
	v_sub_u32_e32 v13, v44, v3
	v_lshlrev_b32_e32 v3, 2, v33
	v_fma_f32 v38, v19, 2.0, -v39
	v_lshl_add_u32 v47, v37, 3, v24
	v_sub_u32_e32 v15, v45, v3
	v_lshlrev_b32_e32 v3, 2, v34
	ds_write_b64 v47, v[38:39]
	s_waitcnt vmcnt(0)
	v_sub_f32_e32 v39, v21, v9
	v_sub_u32_e32 v19, v46, v3
	v_lshlrev_b32_e32 v3, 2, v37
	v_fma_f32 v38, v21, 2.0, -v39
	v_lshl_add_u32 v9, v36, 3, v24
	v_sub_u32_e32 v21, v47, v3
	v_lshlrev_b32_e32 v3, 2, v36
	ds_write_b64 v9, v[38:39]
	s_waitcnt lgkmcnt(0)
	s_barrier
	v_sub_u32_e32 v23, v9, v3
	ds_read_b32 v48, v11
	ds_read_b32 v49, v13
	;; [unrolled: 1-line block ×6, first 2 shown]
	ds_read2_b32 v[38:39], v17 offset0:96 offset1:112
	ds_read2_b32 v[40:41], v17 offset0:128 offset1:144
	;; [unrolled: 1-line block ×3, first 2 shown]
	s_waitcnt lgkmcnt(0)
	s_barrier
	ds_write_b64 v35, v[25:26]
	v_sub_f32_e32 v26, v16, v14
	v_sub_f32_e32 v6, v12, v6
	v_fma_f32 v25, v16, 2.0, -v26
	v_fma_f32 v5, v12, 2.0, -v6
	ds_write_b64 v44, v[25:26]
	ds_write_b64 v45, v[5:6]
	v_sub_f32_e32 v6, v18, v8
	v_fma_f32 v5, v18, 2.0, -v6
	v_sub_f32_e32 v4, v20, v4
	v_sub_f32_e32 v8, v22, v10
	v_fma_f32 v3, v20, 2.0, -v4
	v_fma_f32 v7, v22, 2.0, -v8
	ds_write_b64 v46, v[5:6]
	ds_write_b64 v47, v[3:4]
	;; [unrolled: 1-line block ×3, first 2 shown]
	v_and_b32_e32 v9, 1, v0
	v_lshlrev_b32_e32 v3, 3, v9
	s_waitcnt lgkmcnt(0)
	s_barrier
	global_load_dwordx2 v[3:4], v3, s[10:11]
	ds_read2_b32 v[5:6], v17 offset0:96 offset1:112
	ds_read2_b32 v[7:8], v17 offset0:128 offset1:144
	s_movk_i32 s0, 0x5c
	v_and_b32_e32 v0, 3, v0
	s_waitcnt vmcnt(0)
	v_mul_f32_e32 v12, v38, v4
	s_waitcnt lgkmcnt(1)
	v_mul_f32_e32 v10, v5, v4
	v_fmac_f32_e32 v12, v5, v3
	s_waitcnt lgkmcnt(0)
	v_mul_f32_e32 v5, v7, v4
	v_mul_f32_e32 v16, v39, v4
	v_fma_f32 v18, v40, v3, -v5
	v_mul_f32_e32 v5, v8, v4
	v_mul_f32_e32 v14, v6, v4
	v_fmac_f32_e32 v16, v6, v3
	v_fma_f32 v20, v41, v3, -v5
	ds_read2_b32 v[5:6], v17 offset0:160 offset1:176
	v_mul_f32_e32 v22, v40, v4
	v_mul_f32_e32 v35, v41, v4
	v_fma_f32 v10, v38, v3, -v10
	v_fmac_f32_e32 v22, v7, v3
	v_fmac_f32_e32 v35, v8, v3
	s_waitcnt lgkmcnt(0)
	v_mul_f32_e32 v7, v5, v4
	v_mul_f32_e32 v8, v6, v4
	;; [unrolled: 1-line block ×4, first 2 shown]
	v_fma_f32 v14, v39, v3, -v14
	v_fma_f32 v7, v42, v3, -v7
	;; [unrolled: 1-line block ×3, first 2 shown]
	v_fmac_f32_e32 v38, v5, v3
	v_fmac_f32_e32 v4, v6, v3
	v_sub_f32_e32 v3, v48, v10
	v_lshlrev_b32_e32 v10, 1, v27
	v_and_or_b32 v10, v10, 28, v9
	v_fma_f32 v5, v48, 2.0, -v3
	v_lshl_add_u32 v44, v10, 2, v24
	v_lshlrev_b32_e32 v10, 1, v32
	ds_read_b32 v6, v11
	ds_read_b32 v39, v13
	ds_read_b32 v40, v15
	ds_read_b32 v41, v19
	ds_read_b32 v42, v21
	ds_read_b32 v43, v23
	s_waitcnt lgkmcnt(0)
	s_barrier
	ds_write2_b32 v44, v5, v3 offset1:2
	v_sub_f32_e32 v3, v49, v14
	v_and_or_b32 v10, v10, 60, v9
	v_fma_f32 v5, v49, 2.0, -v3
	v_lshl_add_u32 v14, v10, 2, v24
	v_lshlrev_b32_e32 v10, 1, v33
	ds_write2_b32 v14, v5, v3 offset1:2
	v_sub_f32_e32 v3, v50, v18
	v_and_or_b32 v10, v10, s0, v9
	v_fma_f32 v5, v50, 2.0, -v3
	v_lshl_add_u32 v18, v10, 2, v24
	s_movk_i32 s0, 0x7c
	v_lshlrev_b32_e32 v10, 1, v34
	ds_write2_b32 v18, v5, v3 offset1:2
	v_sub_f32_e32 v3, v51, v20
	v_and_or_b32 v10, v10, s0, v9
	v_fma_f32 v5, v51, 2.0, -v3
	v_lshl_add_u32 v20, v10, 2, v24
	ds_write2_b32 v20, v5, v3 offset1:2
	v_lshlrev_b32_e32 v3, 1, v37
	s_movk_i32 s0, 0x9c
	v_lshlrev_b32_e32 v5, 1, v36
	v_and_or_b32 v3, v3, s0, v9
	s_movk_i32 s0, 0xbc
	v_sub_f32_e32 v12, v6, v12
	v_sub_f32_e32 v7, v52, v7
	;; [unrolled: 1-line block ×3, first 2 shown]
	v_and_or_b32 v5, v5, s0, v9
	v_fma_f32 v6, v6, 2.0, -v12
	v_fma_f32 v10, v52, 2.0, -v7
	;; [unrolled: 1-line block ×3, first 2 shown]
	v_lshl_add_u32 v3, v3, 2, v24
	v_lshl_add_u32 v5, v5, 2, v24
	ds_write2_b32 v3, v10, v7 offset1:2
	ds_write2_b32 v5, v25, v8 offset1:2
	s_waitcnt lgkmcnt(0)
	s_barrier
	ds_read_b32 v45, v11
	ds_read_b32 v46, v13
	;; [unrolled: 1-line block ×6, first 2 shown]
	ds_read2_b32 v[7:8], v17 offset0:128 offset1:144
	ds_read2_b32 v[9:10], v17 offset0:96 offset1:112
	;; [unrolled: 1-line block ×3, first 2 shown]
	s_waitcnt lgkmcnt(0)
	s_barrier
	ds_write2_b32 v44, v6, v12 offset1:2
	v_sub_f32_e32 v6, v39, v16
	v_fma_f32 v12, v39, 2.0, -v6
	ds_write2_b32 v14, v12, v6 offset1:2
	v_sub_f32_e32 v6, v40, v22
	v_fma_f32 v12, v40, 2.0, -v6
	ds_write2_b32 v18, v12, v6 offset1:2
	v_sub_f32_e32 v6, v41, v35
	v_fma_f32 v12, v41, 2.0, -v6
	v_sub_f32_e32 v14, v42, v38
	v_sub_f32_e32 v4, v43, v4
	v_fma_f32 v16, v42, 2.0, -v14
	v_fma_f32 v18, v43, 2.0, -v4
	ds_write2_b32 v20, v12, v6 offset1:2
	ds_write2_b32 v3, v16, v14 offset1:2
	;; [unrolled: 1-line block ×3, first 2 shown]
	v_lshlrev_b32_e32 v3, 4, v0
	s_waitcnt lgkmcnt(0)
	s_barrier
	global_load_dwordx4 v[3:6], v3, s[10:11] offset:16
	ds_read2_b32 v[35:36], v17 offset0:128 offset1:144
	ds_read2_b32 v[37:38], v17 offset0:96 offset1:112
	v_cmp_gt_u32_e64 s[0:1], 12, v27
	s_waitcnt vmcnt(0) lgkmcnt(1)
	v_mul_f32_e32 v12, v35, v6
	v_fma_f32 v12, v7, v5, -v12
	v_mul_f32_e32 v14, v7, v6
	v_mul_f32_e32 v7, v36, v6
	v_fma_f32 v16, v8, v5, -v7
	s_waitcnt lgkmcnt(0)
	v_mul_f32_e32 v7, v37, v4
	v_mul_f32_e32 v18, v8, v6
	v_fma_f32 v20, v9, v3, -v7
	ds_read2_b32 v[7:8], v17 offset0:160 offset1:176
	v_mul_f32_e32 v22, v9, v4
	v_mul_f32_e32 v9, v38, v4
	v_fmac_f32_e32 v14, v35, v5
	v_fma_f32 v35, v10, v3, -v9
	s_waitcnt lgkmcnt(0)
	v_mul_f32_e32 v9, v7, v6
	v_fmac_f32_e32 v18, v36, v5
	v_mul_f32_e32 v36, v10, v4
	v_fmac_f32_e32 v22, v37, v3
	v_fma_f32 v37, v25, v5, -v9
	v_mul_f32_e32 v9, v8, v6
	v_fmac_f32_e32 v36, v38, v3
	v_fma_f32 v38, v26, v5, -v9
	ds_read_b32 v9, v21
	v_mul_f32_e32 v39, v25, v6
	v_mul_f32_e32 v6, v26, v6
	v_fmac_f32_e32 v39, v7, v5
	v_fmac_f32_e32 v6, v8, v5
	ds_read_b32 v5, v23
	ds_read_b32 v7, v19
	s_waitcnt lgkmcnt(2)
	v_mul_f32_e32 v8, v9, v4
	v_mul_f32_e32 v10, v49, v4
	v_fma_f32 v8, v49, v3, -v8
	v_fmac_f32_e32 v10, v9, v3
	s_waitcnt lgkmcnt(1)
	v_mul_f32_e32 v9, v5, v4
	v_mul_f32_e32 v4, v48, v4
	v_fmac_f32_e32 v4, v5, v3
	v_add_f32_e32 v5, v8, v12
	v_lshrrev_b32_e32 v25, 2, v27
	v_fma_f32 v40, v48, v3, -v9
	v_add_f32_e32 v3, v45, v8
	v_fmac_f32_e32 v45, -0.5, v5
	v_mul_u32_u24_e32 v25, 12, v25
	v_sub_f32_e32 v5, v10, v14
	v_mov_b32_e32 v9, v45
	v_or_b32_e32 v25, v25, v0
	v_add_f32_e32 v3, v3, v12
	v_fmac_f32_e32 v9, 0x3f5db3d7, v5
	v_lshl_add_u32 v49, v25, 2, v24
	v_fmac_f32_e32 v45, 0xbf5db3d7, v5
	v_add_f32_e32 v5, v40, v16
	ds_read_b32 v41, v11
	ds_read_b32 v44, v13
	;; [unrolled: 1-line block ×3, first 2 shown]
	s_waitcnt lgkmcnt(0)
	s_barrier
	ds_write2_b32 v49, v3, v9 offset1:4
	v_add_f32_e32 v3, v46, v40
	v_fmac_f32_e32 v46, -0.5, v5
	v_lshrrev_b32_e32 v5, 2, v32
	v_mul_lo_u32 v5, v5, 12
	v_sub_f32_e32 v9, v4, v18
	v_mov_b32_e32 v25, v46
	v_add_f32_e32 v3, v3, v16
	v_or_b32_e32 v5, v5, v0
	v_fmac_f32_e32 v25, 0x3f5db3d7, v9
	v_lshl_add_u32 v5, v5, 2, v24
	v_fmac_f32_e32 v46, 0xbf5db3d7, v9
	v_add_f32_e32 v9, v20, v37
	ds_write_b32 v49, v45 offset:32
	ds_write2_b32 v5, v3, v25 offset1:4
	v_add_f32_e32 v3, v47, v20
	v_fmac_f32_e32 v47, -0.5, v9
	v_lshrrev_b32_e32 v9, 2, v33
	v_mul_lo_u32 v9, v9, 12
	v_sub_f32_e32 v25, v22, v39
	v_mov_b32_e32 v26, v47
	v_add_f32_e32 v3, v3, v37
	v_or_b32_e32 v9, v9, v0
	v_lshl_add_u32 v45, v9, 2, v24
	v_lshrrev_b32_e32 v9, 2, v34
	v_mul_lo_u32 v9, v9, 12
	v_fmac_f32_e32 v26, 0x3f5db3d7, v25
	v_fmac_f32_e32 v47, 0xbf5db3d7, v25
	v_add_f32_e32 v25, v35, v38
	ds_write_b32 v5, v46 offset:32
	ds_write2_b32 v45, v3, v26 offset1:4
	v_add_f32_e32 v3, v50, v35
	v_fmac_f32_e32 v50, -0.5, v25
	v_or_b32_e32 v0, v9, v0
	v_sub_f32_e32 v9, v36, v6
	v_mov_b32_e32 v25, v50
	v_add_f32_e32 v3, v3, v38
	v_fmac_f32_e32 v25, 0x3f5db3d7, v9
	v_lshl_add_u32 v0, v0, 2, v24
	ds_write_b32 v45, v47 offset:32
	ds_write2_b32 v0, v3, v25 offset1:4
	v_add_f32_e32 v3, v41, v10
	v_add_f32_e32 v10, v10, v14
	v_fmac_f32_e32 v41, -0.5, v10
	v_sub_f32_e32 v8, v8, v12
	v_mov_b32_e32 v12, v41
	v_add_f32_e32 v3, v3, v14
	v_fmac_f32_e32 v12, 0xbf5db3d7, v8
	v_fmac_f32_e32 v50, 0xbf5db3d7, v9
	ds_write_b32 v0, v50 offset:32
	s_waitcnt lgkmcnt(0)
	s_barrier
	ds_read_b32 v14, v11
	ds_read_b32 v52, v13
	;; [unrolled: 1-line block ×6, first 2 shown]
	ds_read2_b32 v[9:10], v17 offset0:96 offset1:112
	ds_read2_b32 v[25:26], v17 offset0:128 offset1:144
	ds_read2_b32 v[42:43], v17 offset0:160 offset1:176
	s_waitcnt lgkmcnt(0)
	s_barrier
	ds_write2_b32 v49, v3, v12 offset1:4
	v_add_f32_e32 v3, v44, v4
	v_add_f32_e32 v4, v4, v18
	v_fmac_f32_e32 v44, -0.5, v4
	v_fmac_f32_e32 v41, 0x3f5db3d7, v8
	v_sub_f32_e32 v4, v40, v16
	v_mov_b32_e32 v8, v44
	v_add_f32_e32 v12, v22, v39
	v_fmac_f32_e32 v8, 0xbf5db3d7, v4
	v_fmac_f32_e32 v44, 0x3f5db3d7, v4
	v_add_f32_e32 v4, v48, v22
	v_fmac_f32_e32 v48, -0.5, v12
	v_sub_f32_e32 v12, v20, v37
	v_mov_b32_e32 v16, v48
	v_fmac_f32_e32 v16, 0xbf5db3d7, v12
	v_fmac_f32_e32 v48, 0x3f5db3d7, v12
	v_add_f32_e32 v12, v7, v36
	v_add_f32_e32 v12, v12, v6
	;; [unrolled: 1-line block ×3, first 2 shown]
	v_fmac_f32_e32 v7, -0.5, v6
	v_add_f32_e32 v3, v3, v18
	v_sub_f32_e32 v6, v35, v38
	v_mov_b32_e32 v18, v7
	ds_write_b32 v49, v41 offset:32
	v_add_f32_e32 v4, v4, v39
	v_fmac_f32_e32 v18, 0xbf5db3d7, v6
	v_fmac_f32_e32 v7, 0x3f5db3d7, v6
	ds_write2_b32 v5, v3, v8 offset1:4
	ds_write_b32 v5, v44 offset:32
	ds_write2_b32 v45, v4, v16 offset1:4
	ds_write_b32 v45, v48 offset:32
	;; [unrolled: 2-line block ×3, first 2 shown]
	v_add_u32_e32 v0, -12, v27
	v_cndmask_b32_e64 v0, v0, v27, s[0:1]
	v_mul_i32_i24_e32 v3, 3, v0
	v_mov_b32_e32 v4, 0
	v_lshlrev_b64 v[5:6], 3, v[3:4]
	v_mov_b32_e32 v3, s11
	v_add_co_u32_e64 v44, s[0:1], s10, v5
	v_addc_co_u32_e64 v45, s[0:1], v3, v6, s[0:1]
	s_movk_i32 s0, 0xab
	v_mul_lo_u16_sdwa v3, v32, s0 dst_sel:DWORD dst_unused:UNUSED_PAD src0_sel:BYTE_0 src1_sel:DWORD
	v_lshrrev_b16_e32 v3, 11, v3
	v_mul_lo_u16_e32 v12, 12, v3
	s_waitcnt lgkmcnt(0)
	s_barrier
	global_load_dwordx4 v[5:8], v[44:45], off offset:80
	v_sub_u16_e32 v12, v32, v12
	v_mul_lo_u16_e32 v16, 3, v12
	v_mov_b32_e32 v18, 3
	v_lshlrev_b32_sdwa v16, v18, v16 dst_sel:DWORD dst_unused:UNUSED_PAD src0_sel:DWORD src1_sel:BYTE_0
	global_load_dwordx4 v[34:37], v16, s[10:11] offset:80
	v_mul_lo_u16_sdwa v20, v33, s0 dst_sel:DWORD dst_unused:UNUSED_PAD src0_sel:BYTE_0 src1_sel:DWORD
	v_lshrrev_b16_e32 v20, 11, v20
	v_mul_lo_u16_e32 v22, 12, v20
	v_sub_u16_e32 v22, v33, v22
	v_mul_lo_u16_e32 v38, 3, v22
	v_lshlrev_b32_sdwa v18, v18, v38 dst_sel:DWORD dst_unused:UNUSED_PAD src0_sel:DWORD src1_sel:BYTE_0
	global_load_dwordx4 v[38:41], v18, s[10:11] offset:80
	global_load_dwordx2 v[46:47], v[44:45], off offset:96
	global_load_dwordx2 v[48:49], v16, s[10:11] offset:96
	global_load_dwordx2 v[50:51], v18, s[10:11] offset:96
	ds_read_b32 v16, v19
	ds_read2_b32 v[44:45], v17 offset0:96 offset1:112
	ds_read_b32 v18, v21
	ds_read_b32 v57, v23
	;; [unrolled: 1-line block ×3, first 2 shown]
	v_cmp_lt_u32_e64 s[0:1], 11, v27
	s_waitcnt vmcnt(5) lgkmcnt(4)
	v_mul_f32_e32 v59, v16, v6
	v_fma_f32 v59, v55, v5, -v59
	v_mul_f32_e32 v55, v55, v6
	v_fmac_f32_e32 v55, v16, v5
	s_waitcnt lgkmcnt(3)
	v_mul_f32_e32 v5, v44, v8
	v_fma_f32 v16, v9, v7, -v5
	v_mul_f32_e32 v9, v9, v8
	s_waitcnt vmcnt(4)
	v_mul_f32_e32 v5, v45, v37
	v_fmac_f32_e32 v9, v44, v7
	v_fma_f32 v44, v10, v36, -v5
	s_waitcnt lgkmcnt(2)
	v_mul_f32_e32 v5, v18, v35
	v_mul_f32_e32 v37, v10, v37
	v_fma_f32 v10, v54, v34, -v5
	ds_read2_b32 v[5:6], v17 offset0:128 offset1:144
	v_mul_f32_e32 v35, v54, v35
	s_waitcnt vmcnt(3) lgkmcnt(2)
	v_mul_f32_e32 v7, v57, v39
	v_fmac_f32_e32 v35, v18, v34
	v_fma_f32 v18, v53, v38, -v7
	s_waitcnt lgkmcnt(0)
	v_mul_f32_e32 v7, v5, v41
	v_fmac_f32_e32 v37, v45, v36
	v_fma_f32 v36, v25, v40, -v7
	ds_read2_b32 v[7:8], v17 offset0:160 offset1:176
	v_mul_f32_e32 v25, v25, v41
	v_mul_f32_e32 v34, v53, v39
	v_fmac_f32_e32 v25, v5, v40
	s_waitcnt vmcnt(2)
	v_mul_f32_e32 v5, v6, v47
	v_fmac_f32_e32 v34, v57, v38
	v_fma_f32 v5, v26, v46, -v5
	v_mul_f32_e32 v26, v26, v47
	s_waitcnt vmcnt(1)
	v_mul_f32_e32 v38, v42, v49
	s_waitcnt vmcnt(0)
	v_mul_f32_e32 v39, v43, v51
	v_fmac_f32_e32 v26, v6, v46
	s_waitcnt lgkmcnt(0)
	v_mul_f32_e32 v6, v7, v49
	v_fmac_f32_e32 v38, v7, v48
	v_mul_f32_e32 v7, v8, v51
	v_fmac_f32_e32 v39, v8, v50
	v_cndmask_b32_e64 v8, 0, 48, s[0:1]
	v_or_b32_e32 v0, v8, v0
	v_sub_f32_e32 v8, v14, v16
	v_sub_f32_e32 v5, v59, v5
	v_fma_f32 v14, v14, 2.0, -v8
	v_sub_f32_e32 v16, v55, v26
	v_fma_f32 v26, v59, 2.0, -v5
	v_sub_f32_e32 v26, v14, v26
	v_sub_f32_e32 v40, v8, v16
	v_fma_f32 v6, v42, v48, -v6
	v_fma_f32 v7, v43, v50, -v7
	v_fma_f32 v14, v14, 2.0, -v26
	v_fma_f32 v8, v8, 2.0, -v40
	v_lshl_add_u32 v43, v0, 2, v24
	ds_read_b32 v41, v11
	ds_read_b32 v42, v13
	s_waitcnt lgkmcnt(0)
	s_barrier
	ds_write2_b32 v43, v14, v8 offset1:12
	ds_write2_b32 v43, v26, v40 offset0:24 offset1:36
	v_mul_lo_u16_e32 v0, 48, v3
	v_sub_f32_e32 v3, v52, v44
	v_sub_f32_e32 v26, v10, v6
	v_or_b32_e32 v0, v0, v12
	v_fma_f32 v8, v52, 2.0, -v3
	v_sub_f32_e32 v38, v35, v38
	v_fma_f32 v6, v10, 2.0, -v26
	v_sub_f32_e32 v6, v8, v6
	v_sub_f32_e32 v10, v3, v38
	v_and_b32_e32 v0, 0xff, v0
	v_fma_f32 v8, v8, 2.0, -v6
	v_fma_f32 v3, v3, 2.0, -v10
	v_lshl_add_u32 v40, v0, 2, v24
	ds_write2_b32 v40, v8, v3 offset1:12
	v_sub_f32_e32 v3, v41, v9
	v_fma_f32 v0, v55, 2.0, -v16
	v_fma_f32 v8, v41, 2.0, -v3
	v_sub_f32_e32 v41, v8, v0
	v_fma_f32 v44, v8, 2.0, -v41
	v_sub_f32_e32 v0, v56, v36
	v_sub_f32_e32 v36, v18, v7
	v_mul_lo_u16_e32 v8, 48, v20
	v_add_f32_e32 v45, v3, v5
	v_fma_f32 v5, v56, 2.0, -v0
	v_sub_f32_e32 v39, v34, v39
	v_fma_f32 v7, v18, 2.0, -v36
	v_or_b32_e32 v8, v8, v22
	v_sub_f32_e32 v7, v5, v7
	ds_write2_b32 v40, v6, v10 offset0:24 offset1:36
	v_sub_f32_e32 v6, v0, v39
	v_and_b32_e32 v8, 0xff, v8
	v_fma_f32 v5, v5, 2.0, -v7
	v_fma_f32 v0, v0, 2.0, -v6
	v_lshl_add_u32 v22, v8, 2, v24
	ds_write2_b32 v22, v5, v0 offset1:12
	ds_write2_b32 v22, v7, v6 offset0:24 offset1:36
	s_waitcnt lgkmcnt(0)
	s_barrier
	ds_read2_b32 v[5:6], v17 offset0:96 offset1:112
	ds_read_b32 v0, v11
	ds_read_b32 v14, v13
	;; [unrolled: 1-line block ×6, first 2 shown]
	ds_read2_b32 v[7:8], v17 offset0:128 offset1:144
	ds_read2_b32 v[9:10], v17 offset0:160 offset1:176
	v_fma_f32 v3, v3, 2.0, -v45
	s_waitcnt lgkmcnt(0)
	s_barrier
	ds_write2_b32 v43, v44, v3 offset1:12
	ds_write2_b32 v43, v41, v45 offset0:24 offset1:36
	v_sub_f32_e32 v3, v42, v37
	v_fma_f32 v24, v42, 2.0, -v3
	v_fma_f32 v35, v35, 2.0, -v38
	v_sub_f32_e32 v25, v58, v25
	v_sub_f32_e32 v35, v24, v35
	v_add_f32_e32 v26, v3, v26
	v_fma_f32 v37, v58, 2.0, -v25
	v_fma_f32 v34, v34, 2.0, -v39
	;; [unrolled: 1-line block ×4, first 2 shown]
	v_sub_f32_e32 v34, v37, v34
	v_add_f32_e32 v36, v25, v36
	v_fma_f32 v37, v37, 2.0, -v34
	v_fma_f32 v25, v25, 2.0, -v36
	ds_write2_b32 v40, v24, v3 offset1:12
	ds_write2_b32 v40, v35, v26 offset0:24 offset1:36
	ds_write2_b32 v22, v37, v25 offset1:12
	ds_write2_b32 v22, v34, v36 offset0:24 offset1:36
	s_waitcnt lgkmcnt(0)
	s_barrier
	s_and_saveexec_b64 s[0:1], vcc
	s_cbranch_execz .LBB0_10
; %bb.9:
	v_mul_i32_i24_e32 v3, 3, v33
	v_lshlrev_b64 v[24:25], 3, v[3:4]
	v_mul_u32_u24_e32 v3, 3, v27
	v_lshlrev_b32_e32 v26, 3, v3
	v_mul_i32_i24_e32 v3, 3, v32
	v_mov_b32_e32 v22, s11
	v_add_co_u32_e32 v24, vcc, s10, v24
	v_lshlrev_b64 v[3:4], 3, v[3:4]
	global_load_dwordx4 v[33:36], v26, s[10:11] offset:368
	v_addc_co_u32_e32 v25, vcc, v22, v25, vcc
	global_load_dwordx4 v[37:40], v[24:25], off offset:368
	global_load_dwordx2 v[45:46], v[24:25], off offset:384
	v_add_co_u32_e32 v3, vcc, s10, v3
	v_addc_co_u32_e32 v4, vcc, v22, v4, vcc
	global_load_dwordx4 v[41:44], v[3:4], off offset:368
	global_load_dwordx2 v[24:25], v[3:4], off offset:384
	global_load_dwordx2 v[47:48], v26, s[10:11] offset:384
	ds_read2_b32 v[3:4], v17 offset0:128 offset1:144
	ds_read2_b32 v[49:50], v17 offset0:160 offset1:176
	;; [unrolled: 1-line block ×3, first 2 shown]
	ds_read_b32 v17, v23
	ds_read_b32 v21, v21
	;; [unrolled: 1-line block ×6, first 2 shown]
	s_waitcnt vmcnt(5) lgkmcnt(3)
	v_mul_f32_e32 v22, v32, v34
	v_mul_f32_e32 v19, v5, v36
	v_fma_f32 v53, v12, v33, -v22
	s_waitcnt vmcnt(4)
	v_mul_f32_e32 v22, v7, v40
	v_mul_f32_e32 v23, v17, v38
	s_waitcnt vmcnt(3)
	v_mul_f32_e32 v26, v50, v46
	v_mul_f32_e32 v40, v3, v40
	;; [unrolled: 1-line block ×4, first 2 shown]
	v_fmac_f32_e32 v19, v51, v35
	v_fmac_f32_e32 v22, v3, v39
	v_fma_f32 v3, v20, v37, -v23
	v_fma_f32 v10, v10, v45, -v26
	;; [unrolled: 1-line block ×3, first 2 shown]
	v_fmac_f32_e32 v38, v37, v17
	v_fmac_f32_e32 v46, v45, v50
	s_waitcnt vmcnt(2)
	v_mul_f32_e32 v17, v6, v44
	s_waitcnt vmcnt(1)
	v_mul_f32_e32 v20, v49, v25
	v_mul_f32_e32 v26, v18, v42
	;; [unrolled: 1-line block ×3, first 2 shown]
	s_waitcnt lgkmcnt(0)
	v_sub_f32_e32 v54, v11, v19
	v_mul_f32_e32 v19, v21, v42
	v_mul_f32_e32 v23, v52, v44
	v_sub_f32_e32 v22, v15, v22
	v_sub_f32_e32 v10, v3, v10
	;; [unrolled: 1-line block ×4, first 2 shown]
	v_fmac_f32_e32 v17, v52, v43
	v_fmac_f32_e32 v26, v41, v21
	;; [unrolled: 1-line block ×3, first 2 shown]
	v_fma_f32 v19, v18, v41, -v19
	v_fma_f32 v9, v9, v24, -v20
	;; [unrolled: 1-line block ×3, first 2 shown]
	v_add_f32_e32 v7, v22, v10
	v_fma_f32 v20, v15, 2.0, -v22
	v_fma_f32 v15, v38, 2.0, -v39
	;; [unrolled: 1-line block ×4, first 2 shown]
	v_sub_f32_e32 v23, v13, v17
	v_sub_f32_e32 v25, v26, v25
	;; [unrolled: 1-line block ×4, first 2 shown]
	v_fma_f32 v10, v22, 2.0, -v7
	v_sub_f32_e32 v16, v20, v15
	v_sub_f32_e32 v15, v21, v3
	v_fma_f32 v3, v13, 2.0, -v23
	v_fma_f32 v22, v26, 2.0, -v25
	v_add_f32_e32 v18, v23, v24
	v_sub_f32_e32 v17, v38, v25
	v_fma_f32 v25, v14, 2.0, -v38
	v_fma_f32 v24, v19, 2.0, -v24
	v_sub_f32_e32 v22, v3, v22
	v_fma_f32 v13, v21, 2.0, -v15
	v_sub_f32_e32 v21, v25, v24
	v_fma_f32 v24, v3, 2.0, -v22
	s_waitcnt vmcnt(0)
	v_mul_f32_e32 v3, v4, v48
	v_fma_f32 v3, v8, v47, -v3
	v_fma_f32 v19, v38, 2.0, -v17
	v_sub_f32_e32 v38, v53, v3
	v_mul_f32_e32 v3, v51, v36
	v_fma_f32 v3, v5, v35, -v3
	v_sub_f32_e32 v5, v0, v3
	v_mul_f32_e32 v3, v12, v34
	v_mul_f32_e32 v8, v8, v48
	v_fmac_f32_e32 v3, v33, v32
	v_fmac_f32_e32 v8, v47, v4
	v_sub_f32_e32 v4, v3, v8
	v_fma_f32 v14, v20, 2.0, -v16
	v_fma_f32 v20, v23, 2.0, -v18
	v_fma_f32 v23, v25, 2.0, -v21
	v_sub_f32_e32 v25, v5, v4
	v_fma_f32 v8, v11, 2.0, -v54
	v_fma_f32 v11, v3, 2.0, -v4
	v_mad_u64_u32 v[3:4], s[0:1], s6, v27, 0
	v_sub_f32_e32 v12, v8, v11
	v_fma_f32 v33, v8, 2.0, -v12
	v_fma_f32 v8, v0, 2.0, -v5
	v_mov_b32_e32 v0, v4
	v_mad_u64_u32 v[34:35], s[0:1], s6, v31, 0
	v_fma_f32 v36, v5, 2.0, -v25
	v_mad_u64_u32 v[4:5], s[0:1], s7, v27, v[0:1]
	v_fma_f32 v0, v53, 2.0, -v38
	v_sub_f32_e32 v11, v8, v0
	v_fma_f32 v32, v8, 2.0, -v11
	v_mov_b32_e32 v0, s9
	v_add_co_u32_e32 v8, vcc, s8, v1
	v_add_f32_e32 v26, v54, v38
	v_addc_co_u32_e32 v38, vcc, v0, v2, vcc
	v_mov_b32_e32 v2, v35
	v_lshlrev_b64 v[0:1], 3, v[3:4]
	v_mad_u64_u32 v[2:3], s[0:1], s7, v31, v[2:3]
	v_or_b32_e32 v4, 0x60, v27
	v_add_co_u32_e32 v0, vcc, v8, v0
	v_mov_b32_e32 v35, v2
	v_mad_u64_u32 v[2:3], s[0:1], s6, v4, 0
	v_addc_co_u32_e32 v1, vcc, v38, v1, vcc
	v_mad_u64_u32 v[3:4], s[0:1], s7, v4, v[3:4]
	v_or_b32_e32 v31, 0x90, v27
	global_store_dwordx2 v[0:1], v[32:33], off
	v_lshlrev_b64 v[0:1], 3, v[34:35]
	v_mad_u64_u32 v[4:5], s[0:1], s6, v31, 0
	v_sub_f32_e32 v6, v37, v39
	v_add_co_u32_e32 v0, vcc, v8, v0
	v_fma_f32 v9, v37, 2.0, -v6
	v_fma_f32 v37, v54, 2.0, -v26
	v_addc_co_u32_e32 v1, vcc, v38, v1, vcc
	global_store_dwordx2 v[0:1], v[36:37], off
	v_lshlrev_b64 v[0:1], 3, v[2:3]
	v_mov_b32_e32 v2, v5
	v_mad_u64_u32 v[2:3], s[0:1], s7, v31, v[2:3]
	v_add_co_u32_e32 v0, vcc, v8, v0
	v_mov_b32_e32 v5, v2
	v_mad_u64_u32 v[2:3], s[0:1], s6, v30, 0
	v_addc_co_u32_e32 v1, vcc, v38, v1, vcc
	global_store_dwordx2 v[0:1], v[11:12], off
	v_lshlrev_b64 v[0:1], 3, v[4:5]
	v_mad_u64_u32 v[3:4], s[0:1], s7, v30, v[3:4]
	v_mad_u64_u32 v[4:5], s[0:1], s6, v29, 0
	v_add_co_u32_e32 v0, vcc, v8, v0
	v_addc_co_u32_e32 v1, vcc, v38, v1, vcc
	global_store_dwordx2 v[0:1], v[25:26], off
	v_lshlrev_b64 v[0:1], 3, v[2:3]
	v_mov_b32_e32 v2, v5
	v_mad_u64_u32 v[2:3], s[0:1], s7, v29, v[2:3]
	v_add_co_u32_e32 v0, vcc, v8, v0
	v_addc_co_u32_e32 v1, vcc, v38, v1, vcc
	v_mov_b32_e32 v5, v2
	global_store_dwordx2 v[0:1], v[23:24], off
	v_lshlrev_b64 v[0:1], 3, v[4:5]
	v_or_b32_e32 v4, 0x70, v27
	v_mad_u64_u32 v[2:3], s[0:1], s6, v4, 0
	v_or_b32_e32 v11, 0xa0, v27
	v_add_co_u32_e32 v0, vcc, v8, v0
	v_mad_u64_u32 v[3:4], s[0:1], s7, v4, v[3:4]
	v_mad_u64_u32 v[4:5], s[0:1], s6, v11, 0
	v_addc_co_u32_e32 v1, vcc, v38, v1, vcc
	global_store_dwordx2 v[0:1], v[19:20], off
	v_lshlrev_b64 v[0:1], 3, v[2:3]
	v_mov_b32_e32 v2, v5
	v_mad_u64_u32 v[2:3], s[0:1], s7, v11, v[2:3]
	v_add_co_u32_e32 v0, vcc, v8, v0
	v_mov_b32_e32 v5, v2
	v_mad_u64_u32 v[2:3], s[0:1], s6, v28, 0
	v_addc_co_u32_e32 v1, vcc, v38, v1, vcc
	global_store_dwordx2 v[0:1], v[21:22], off
	v_lshlrev_b64 v[0:1], 3, v[4:5]
	v_mad_u64_u32 v[3:4], s[0:1], s7, v28, v[3:4]
	v_or_b32_e32 v11, 0x50, v27
	v_mad_u64_u32 v[4:5], s[0:1], s6, v11, 0
	v_add_co_u32_e32 v0, vcc, v8, v0
	v_addc_co_u32_e32 v1, vcc, v38, v1, vcc
	global_store_dwordx2 v[0:1], v[17:18], off
	v_lshlrev_b64 v[0:1], 3, v[2:3]
	v_mov_b32_e32 v2, v5
	v_mad_u64_u32 v[2:3], s[0:1], s7, v11, v[2:3]
	v_add_co_u32_e32 v0, vcc, v8, v0
	v_addc_co_u32_e32 v1, vcc, v38, v1, vcc
	v_mov_b32_e32 v5, v2
	global_store_dwordx2 v[0:1], v[13:14], off
	v_lshlrev_b64 v[0:1], 3, v[4:5]
	v_or_b32_e32 v4, 0x80, v27
	v_mad_u64_u32 v[2:3], s[0:1], s6, v4, 0
	v_or_b32_e32 v11, 0xb0, v27
	v_add_co_u32_e32 v0, vcc, v8, v0
	v_mad_u64_u32 v[3:4], s[0:1], s7, v4, v[3:4]
	v_mad_u64_u32 v[4:5], s[0:1], s6, v11, 0
	v_addc_co_u32_e32 v1, vcc, v38, v1, vcc
	global_store_dwordx2 v[0:1], v[9:10], off
	v_lshlrev_b64 v[0:1], 3, v[2:3]
	v_mov_b32_e32 v2, v5
	v_mad_u64_u32 v[2:3], s[0:1], s7, v11, v[2:3]
	v_add_co_u32_e32 v0, vcc, v8, v0
	v_addc_co_u32_e32 v1, vcc, v38, v1, vcc
	v_mov_b32_e32 v5, v2
	global_store_dwordx2 v[0:1], v[15:16], off
	v_lshlrev_b64 v[0:1], 3, v[4:5]
	v_add_co_u32_e32 v0, vcc, v8, v0
	v_addc_co_u32_e32 v1, vcc, v38, v1, vcc
	global_store_dwordx2 v[0:1], v[6:7], off
.LBB0_10:
	s_endpgm
	.section	.rodata,"a",@progbits
	.p2align	6, 0x0
	.amdhsa_kernel fft_rtc_fwd_len192_factors_2_2_3_4_4_wgs_256_tpt_16_halfLds_dim3_sp_ip_CI_sbrr_dirReg
		.amdhsa_group_segment_fixed_size 0
		.amdhsa_private_segment_fixed_size 0
		.amdhsa_kernarg_size 80
		.amdhsa_user_sgpr_count 6
		.amdhsa_user_sgpr_private_segment_buffer 1
		.amdhsa_user_sgpr_dispatch_ptr 0
		.amdhsa_user_sgpr_queue_ptr 0
		.amdhsa_user_sgpr_kernarg_segment_ptr 1
		.amdhsa_user_sgpr_dispatch_id 0
		.amdhsa_user_sgpr_flat_scratch_init 0
		.amdhsa_user_sgpr_private_segment_size 0
		.amdhsa_uses_dynamic_stack 0
		.amdhsa_system_sgpr_private_segment_wavefront_offset 0
		.amdhsa_system_sgpr_workgroup_id_x 1
		.amdhsa_system_sgpr_workgroup_id_y 0
		.amdhsa_system_sgpr_workgroup_id_z 0
		.amdhsa_system_sgpr_workgroup_info 0
		.amdhsa_system_vgpr_workitem_id 0
		.amdhsa_next_free_vgpr 60
		.amdhsa_next_free_sgpr 16
		.amdhsa_reserve_vcc 1
		.amdhsa_reserve_flat_scratch 0
		.amdhsa_float_round_mode_32 0
		.amdhsa_float_round_mode_16_64 0
		.amdhsa_float_denorm_mode_32 3
		.amdhsa_float_denorm_mode_16_64 3
		.amdhsa_dx10_clamp 1
		.amdhsa_ieee_mode 1
		.amdhsa_fp16_overflow 0
		.amdhsa_exception_fp_ieee_invalid_op 0
		.amdhsa_exception_fp_denorm_src 0
		.amdhsa_exception_fp_ieee_div_zero 0
		.amdhsa_exception_fp_ieee_overflow 0
		.amdhsa_exception_fp_ieee_underflow 0
		.amdhsa_exception_fp_ieee_inexact 0
		.amdhsa_exception_int_div_zero 0
	.end_amdhsa_kernel
	.text
.Lfunc_end0:
	.size	fft_rtc_fwd_len192_factors_2_2_3_4_4_wgs_256_tpt_16_halfLds_dim3_sp_ip_CI_sbrr_dirReg, .Lfunc_end0-fft_rtc_fwd_len192_factors_2_2_3_4_4_wgs_256_tpt_16_halfLds_dim3_sp_ip_CI_sbrr_dirReg
                                        ; -- End function
	.section	.AMDGPU.csdata,"",@progbits
; Kernel info:
; codeLenInByte = 5776
; NumSgprs: 20
; NumVgprs: 60
; ScratchSize: 0
; MemoryBound: 0
; FloatMode: 240
; IeeeMode: 1
; LDSByteSize: 0 bytes/workgroup (compile time only)
; SGPRBlocks: 2
; VGPRBlocks: 14
; NumSGPRsForWavesPerEU: 20
; NumVGPRsForWavesPerEU: 60
; Occupancy: 4
; WaveLimiterHint : 1
; COMPUTE_PGM_RSRC2:SCRATCH_EN: 0
; COMPUTE_PGM_RSRC2:USER_SGPR: 6
; COMPUTE_PGM_RSRC2:TRAP_HANDLER: 0
; COMPUTE_PGM_RSRC2:TGID_X_EN: 1
; COMPUTE_PGM_RSRC2:TGID_Y_EN: 0
; COMPUTE_PGM_RSRC2:TGID_Z_EN: 0
; COMPUTE_PGM_RSRC2:TIDIG_COMP_CNT: 0
	.type	__hip_cuid_872f48df70dbadb6,@object ; @__hip_cuid_872f48df70dbadb6
	.section	.bss,"aw",@nobits
	.globl	__hip_cuid_872f48df70dbadb6
__hip_cuid_872f48df70dbadb6:
	.byte	0                               ; 0x0
	.size	__hip_cuid_872f48df70dbadb6, 1

	.ident	"AMD clang version 19.0.0git (https://github.com/RadeonOpenCompute/llvm-project roc-6.4.0 25133 c7fe45cf4b819c5991fe208aaa96edf142730f1d)"
	.section	".note.GNU-stack","",@progbits
	.addrsig
	.addrsig_sym __hip_cuid_872f48df70dbadb6
	.amdgpu_metadata
---
amdhsa.kernels:
  - .args:
      - .actual_access:  read_only
        .address_space:  global
        .offset:         0
        .size:           8
        .value_kind:     global_buffer
      - .actual_access:  read_only
        .address_space:  global
        .offset:         8
        .size:           8
        .value_kind:     global_buffer
      - .actual_access:  read_only
        .address_space:  global
        .offset:         16
        .size:           8
        .value_kind:     global_buffer
      - .offset:         24
        .size:           8
        .value_kind:     by_value
      - .actual_access:  read_only
        .address_space:  global
        .offset:         32
        .size:           8
        .value_kind:     global_buffer
      - .actual_access:  read_only
        .address_space:  global
        .offset:         40
        .size:           8
        .value_kind:     global_buffer
      - .offset:         48
        .size:           4
        .value_kind:     by_value
      - .actual_access:  read_only
        .address_space:  global
        .offset:         56
        .size:           8
        .value_kind:     global_buffer
      - .actual_access:  read_only
        .address_space:  global
        .offset:         64
        .size:           8
        .value_kind:     global_buffer
      - .address_space:  global
        .offset:         72
        .size:           8
        .value_kind:     global_buffer
    .group_segment_fixed_size: 0
    .kernarg_segment_align: 8
    .kernarg_segment_size: 80
    .language:       OpenCL C
    .language_version:
      - 2
      - 0
    .max_flat_workgroup_size: 256
    .name:           fft_rtc_fwd_len192_factors_2_2_3_4_4_wgs_256_tpt_16_halfLds_dim3_sp_ip_CI_sbrr_dirReg
    .private_segment_fixed_size: 0
    .sgpr_count:     20
    .sgpr_spill_count: 0
    .symbol:         fft_rtc_fwd_len192_factors_2_2_3_4_4_wgs_256_tpt_16_halfLds_dim3_sp_ip_CI_sbrr_dirReg.kd
    .uniform_work_group_size: 1
    .uses_dynamic_stack: false
    .vgpr_count:     60
    .vgpr_spill_count: 0
    .wavefront_size: 64
amdhsa.target:   amdgcn-amd-amdhsa--gfx906
amdhsa.version:
  - 1
  - 2
...

	.end_amdgpu_metadata
